;; amdgpu-corpus repo=ROCm/rocFFT kind=compiled arch=gfx1030 opt=O3
	.text
	.amdgcn_target "amdgcn-amd-amdhsa--gfx1030"
	.amdhsa_code_object_version 6
	.protected	fft_rtc_fwd_len343_factors_7_7_7_wgs_245_tpt_49_half_op_CI_CI_sbcc_twdbase6_3step_dirReg_intrinsicReadWrite ; -- Begin function fft_rtc_fwd_len343_factors_7_7_7_wgs_245_tpt_49_half_op_CI_CI_sbcc_twdbase6_3step_dirReg_intrinsicReadWrite
	.globl	fft_rtc_fwd_len343_factors_7_7_7_wgs_245_tpt_49_half_op_CI_CI_sbcc_twdbase6_3step_dirReg_intrinsicReadWrite
	.p2align	8
	.type	fft_rtc_fwd_len343_factors_7_7_7_wgs_245_tpt_49_half_op_CI_CI_sbcc_twdbase6_3step_dirReg_intrinsicReadWrite,@function
fft_rtc_fwd_len343_factors_7_7_7_wgs_245_tpt_49_half_op_CI_CI_sbcc_twdbase6_3step_dirReg_intrinsicReadWrite: ; @fft_rtc_fwd_len343_factors_7_7_7_wgs_245_tpt_49_half_op_CI_CI_sbcc_twdbase6_3step_dirReg_intrinsicReadWrite
; %bb.0:
	s_clause 0x1
	s_load_dwordx8 s[8:15], s[4:5], 0x8
	s_load_dwordx2 s[26:27], s[4:5], 0x28
	s_mov_b32 s0, exec_lo
	v_cmpx_gt_u32_e32 0xc0, v0
	s_cbranch_execz .LBB0_2
; %bb.1:
	v_lshlrev_b32_e32 v1, 2, v0
	s_waitcnt lgkmcnt(0)
	global_load_dword v2, v1, s[8:9]
	v_add_nc_u32_e32 v1, 0, v1
	s_waitcnt vmcnt(0)
	ds_write_b32 v1, v2 offset:6860
.LBB0_2:
	s_or_b32 exec_lo, exec_lo, s0
	s_waitcnt lgkmcnt(0)
	s_load_dwordx2 s[24:25], s[12:13], 0x8
	s_mov_b64 s[30:31], 0
	s_waitcnt lgkmcnt(0)
	s_add_u32 s0, s24, -1
	s_addc_u32 s1, s25, -1
	s_add_u32 s2, 0, 0x3330c000
	s_addc_u32 s3, 0, 0xb3
	s_mul_hi_u32 s8, s2, -5
	s_add_i32 s3, s3, 0x33333280
	s_sub_i32 s8, s8, s2
	s_mul_i32 s16, s3, -5
	s_mul_i32 s7, s2, -5
	s_add_i32 s8, s8, s16
	s_mul_hi_u32 s9, s2, s7
	s_mul_i32 s18, s2, s8
	s_mul_hi_u32 s16, s2, s8
	s_mul_hi_u32 s17, s3, s7
	s_mul_i32 s7, s3, s7
	s_add_u32 s9, s9, s18
	s_addc_u32 s16, 0, s16
	s_mul_hi_u32 s19, s3, s8
	s_add_u32 s7, s9, s7
	s_mul_i32 s8, s3, s8
	s_addc_u32 s7, s16, s17
	s_addc_u32 s9, s19, 0
	s_add_u32 s7, s7, s8
	v_add_co_u32 v1, s2, s2, s7
	s_addc_u32 s7, 0, s9
	s_cmp_lg_u32 s2, 0
	s_addc_u32 s2, s3, s7
	v_readfirstlane_b32 s3, v1
	s_mul_i32 s8, s0, s2
	s_mul_hi_u32 s7, s0, s2
	s_mul_hi_u32 s9, s1, s2
	s_mul_i32 s2, s1, s2
	s_mul_hi_u32 s16, s0, s3
	s_mul_hi_u32 s17, s1, s3
	s_mul_i32 s3, s1, s3
	s_add_u32 s8, s16, s8
	s_addc_u32 s7, 0, s7
	s_add_u32 s3, s8, s3
	s_addc_u32 s3, s7, s17
	s_addc_u32 s7, s9, 0
	s_add_u32 s2, s3, s2
	s_addc_u32 s3, 0, s7
	s_mul_i32 s8, s2, 5
	s_add_u32 s7, s2, 1
	v_sub_co_u32 v1, s0, s0, s8
	s_mul_hi_u32 s8, s2, 5
	s_addc_u32 s9, s3, 0
	s_mul_i32 s16, s3, 5
	v_sub_co_u32 v2, s17, v1, 5
	s_add_u32 s18, s2, 2
	s_addc_u32 s19, s3, 0
	s_add_i32 s8, s8, s16
	s_cmp_lg_u32 s0, 0
	v_readfirstlane_b32 s0, v2
	s_subb_u32 s1, s1, s8
	s_cmp_lg_u32 s17, 0
	s_subb_u32 s8, s1, 0
	s_cmp_gt_u32 s0, 4
	s_cselect_b32 s0, -1, 0
	s_cmp_eq_u32 s8, 0
	v_readfirstlane_b32 s8, v1
	s_cselect_b32 s0, s0, -1
	s_cmp_lg_u32 s0, 0
	s_cselect_b32 s0, s18, s7
	s_cselect_b32 s9, s19, s9
	s_cmp_gt_u32 s8, 4
	s_cselect_b32 s7, -1, 0
	s_cmp_eq_u32 s1, 0
	s_cselect_b32 s1, s7, -1
	s_mov_b32 s7, 0
	s_cmp_lg_u32 s1, 0
	s_cselect_b32 s0, s0, s2
	s_cselect_b32 s1, s9, s3
	s_add_u32 s28, s0, 1
	s_addc_u32 s29, s1, 0
	v_cmp_lt_u64_e64 s0, s[6:7], s[28:29]
	s_and_b32 vcc_lo, exec_lo, s0
	s_cbranch_vccnz .LBB0_4
; %bb.3:
	v_cvt_f32_u32_e32 v1, s28
	s_sub_i32 s1, 0, s28
	s_mov_b32 s31, s7
	v_rcp_iflag_f32_e32 v1, v1
	v_mul_f32_e32 v1, 0x4f7ffffe, v1
	v_cvt_u32_f32_e32 v1, v1
	v_readfirstlane_b32 s0, v1
	s_mul_i32 s1, s1, s0
	s_mul_hi_u32 s1, s0, s1
	s_add_i32 s0, s0, s1
	s_mul_hi_u32 s0, s6, s0
	s_mul_i32 s1, s0, s28
	s_add_i32 s2, s0, 1
	s_sub_i32 s1, s6, s1
	s_sub_i32 s3, s1, s28
	s_cmp_ge_u32 s1, s28
	s_cselect_b32 s0, s2, s0
	s_cselect_b32 s1, s3, s1
	s_add_i32 s2, s0, 1
	s_cmp_ge_u32 s1, s28
	s_cselect_b32 s30, s2, s0
.LBB0_4:
	s_load_dwordx4 s[20:23], s[14:15], 0x0
	s_load_dwordx4 s[16:19], s[26:27], 0x0
	s_clause 0x1
	s_load_dwordx4 s[0:3], s[4:5], 0x60
	s_load_dwordx2 s[8:9], s[4:5], 0x0
	s_mul_i32 s4, s30, s29
	s_mul_hi_u32 s5, s30, s28
	s_waitcnt lgkmcnt(0)
	s_mul_i32 s17, s30, s28
	s_add_i32 s5, s5, s4
	s_sub_u32 s21, s6, s17
	s_subb_u32 s4, 0, s5
	s_mul_hi_u32 s17, s21, 5
	s_mul_i32 s4, s4, 5
	v_cmp_lt_u64_e64 s5, s[10:11], 3
	s_add_i32 s17, s17, s4
	s_mul_i32 s21, s21, 5
	s_and_b32 vcc_lo, exec_lo, s5
	s_mul_i32 s4, s22, s17
	s_mul_hi_u32 s33, s22, s21
	s_mul_i32 s35, s18, s17
	s_mul_hi_u32 s36, s18, s21
	s_mul_i32 s34, s23, s21
	s_mul_i32 s19, s19, s21
	s_add_i32 s4, s33, s4
	s_add_i32 s35, s36, s35
	s_mul_i32 s23, s22, s21
	s_add_i32 s33, s4, s34
	s_add_i32 s44, s35, s19
	s_mul_i32 s19, s18, s21
	s_cbranch_vccnz .LBB0_14
; %bb.5:
	s_add_u32 s4, s26, 16
	s_addc_u32 s5, s27, 0
	s_add_u32 s34, s14, 16
	s_addc_u32 s35, s15, 0
	;; [unrolled: 2-line block ×3, first 2 shown]
	s_mov_b64 s[36:37], 2
	s_mov_b32 s38, 0
.LBB0_6:                                ; =>This Inner Loop Header: Depth=1
	s_load_dwordx2 s[40:41], s[12:13], 0x0
	s_waitcnt lgkmcnt(0)
	s_or_b64 s[42:43], s[30:31], s[40:41]
	s_mov_b32 s39, s43
                                        ; implicit-def: $sgpr42_sgpr43
	s_cmp_lg_u64 s[38:39], 0
	s_mov_b32 s39, -1
	s_cbranch_scc0 .LBB0_8
; %bb.7:                                ;   in Loop: Header=BB0_6 Depth=1
	v_cvt_f32_u32_e32 v1, s40
	v_cvt_f32_u32_e32 v2, s41
	s_sub_u32 s43, 0, s40
	s_subb_u32 s45, 0, s41
	v_fmac_f32_e32 v1, 0x4f800000, v2
	v_rcp_f32_e32 v1, v1
	v_mul_f32_e32 v1, 0x5f7ffffc, v1
	v_mul_f32_e32 v2, 0x2f800000, v1
	v_trunc_f32_e32 v2, v2
	v_fmac_f32_e32 v1, 0xcf800000, v2
	v_cvt_u32_f32_e32 v2, v2
	v_cvt_u32_f32_e32 v1, v1
	v_readfirstlane_b32 s39, v2
	v_readfirstlane_b32 s42, v1
	s_mul_i32 s46, s43, s39
	s_mul_hi_u32 s48, s43, s42
	s_mul_i32 s47, s45, s42
	s_add_i32 s46, s48, s46
	s_mul_i32 s49, s43, s42
	s_add_i32 s46, s46, s47
	s_mul_hi_u32 s48, s42, s49
	s_mul_hi_u32 s50, s39, s49
	s_mul_i32 s47, s39, s49
	s_mul_hi_u32 s49, s42, s46
	s_mul_i32 s42, s42, s46
	s_mul_hi_u32 s51, s39, s46
	s_add_u32 s42, s48, s42
	s_addc_u32 s48, 0, s49
	s_add_u32 s42, s42, s47
	s_mul_i32 s46, s39, s46
	s_addc_u32 s42, s48, s50
	s_addc_u32 s47, s51, 0
	s_add_u32 s42, s42, s46
	s_addc_u32 s46, 0, s47
	v_add_co_u32 v1, s42, v1, s42
	s_cmp_lg_u32 s42, 0
	s_addc_u32 s39, s39, s46
	v_readfirstlane_b32 s42, v1
	s_mul_i32 s46, s43, s39
	s_mul_hi_u32 s47, s43, s42
	s_mul_i32 s45, s45, s42
	s_add_i32 s46, s47, s46
	s_mul_i32 s43, s43, s42
	s_add_i32 s46, s46, s45
	s_mul_hi_u32 s47, s39, s43
	s_mul_i32 s48, s39, s43
	s_mul_hi_u32 s43, s42, s43
	s_mul_hi_u32 s49, s42, s46
	s_mul_i32 s42, s42, s46
	s_mul_hi_u32 s45, s39, s46
	s_add_u32 s42, s43, s42
	s_addc_u32 s43, 0, s49
	s_add_u32 s42, s42, s48
	s_mul_i32 s46, s39, s46
	s_addc_u32 s42, s43, s47
	s_addc_u32 s43, s45, 0
	s_add_u32 s42, s42, s46
	s_addc_u32 s43, 0, s43
	v_add_co_u32 v1, s42, v1, s42
	s_cmp_lg_u32 s42, 0
	s_addc_u32 s39, s39, s43
	v_readfirstlane_b32 s42, v1
	s_mul_i32 s45, s30, s39
	s_mul_hi_u32 s43, s30, s39
	s_mul_hi_u32 s46, s31, s39
	s_mul_i32 s39, s31, s39
	s_mul_hi_u32 s47, s30, s42
	s_mul_hi_u32 s48, s31, s42
	s_mul_i32 s42, s31, s42
	s_add_u32 s45, s47, s45
	s_addc_u32 s43, 0, s43
	s_add_u32 s42, s45, s42
	s_addc_u32 s42, s43, s48
	s_addc_u32 s43, s46, 0
	s_add_u32 s42, s42, s39
	s_addc_u32 s43, 0, s43
	s_mul_hi_u32 s39, s40, s42
	s_mul_i32 s46, s40, s43
	s_mul_i32 s47, s40, s42
	s_add_i32 s39, s39, s46
	v_sub_co_u32 v1, s46, s30, s47
	s_mul_i32 s45, s41, s42
	s_add_i32 s39, s39, s45
	v_sub_co_u32 v2, s47, v1, s40
	s_sub_i32 s45, s31, s39
	s_cmp_lg_u32 s46, 0
	s_subb_u32 s45, s45, s41
	s_cmp_lg_u32 s47, 0
	v_readfirstlane_b32 s47, v2
	s_subb_u32 s45, s45, 0
	s_cmp_ge_u32 s45, s41
	s_cselect_b32 s48, -1, 0
	s_cmp_ge_u32 s47, s40
	s_cselect_b32 s47, -1, 0
	s_cmp_eq_u32 s45, s41
	s_cselect_b32 s45, s47, s48
	s_add_u32 s47, s42, 1
	s_addc_u32 s48, s43, 0
	s_add_u32 s49, s42, 2
	s_addc_u32 s50, s43, 0
	s_cmp_lg_u32 s45, 0
	s_cselect_b32 s45, s49, s47
	s_cselect_b32 s47, s50, s48
	s_cmp_lg_u32 s46, 0
	v_readfirstlane_b32 s46, v1
	s_subb_u32 s39, s31, s39
	s_cmp_ge_u32 s39, s41
	s_cselect_b32 s48, -1, 0
	s_cmp_ge_u32 s46, s40
	s_cselect_b32 s46, -1, 0
	s_cmp_eq_u32 s39, s41
	s_cselect_b32 s39, s46, s48
	s_cmp_lg_u32 s39, 0
	s_mov_b32 s39, 0
	s_cselect_b32 s43, s47, s43
	s_cselect_b32 s42, s45, s42
.LBB0_8:                                ;   in Loop: Header=BB0_6 Depth=1
	s_andn2_b32 vcc_lo, exec_lo, s39
	s_cbranch_vccnz .LBB0_10
; %bb.9:                                ;   in Loop: Header=BB0_6 Depth=1
	v_cvt_f32_u32_e32 v1, s40
	s_sub_i32 s42, 0, s40
	v_rcp_iflag_f32_e32 v1, v1
	v_mul_f32_e32 v1, 0x4f7ffffe, v1
	v_cvt_u32_f32_e32 v1, v1
	v_readfirstlane_b32 s39, v1
	s_mul_i32 s42, s42, s39
	s_mul_hi_u32 s42, s39, s42
	s_add_i32 s39, s39, s42
	s_mul_hi_u32 s39, s30, s39
	s_mul_i32 s42, s39, s40
	s_add_i32 s43, s39, 1
	s_sub_i32 s42, s30, s42
	s_sub_i32 s45, s42, s40
	s_cmp_ge_u32 s42, s40
	s_cselect_b32 s39, s43, s39
	s_cselect_b32 s42, s45, s42
	s_add_i32 s43, s39, 1
	s_cmp_ge_u32 s42, s40
	s_cselect_b32 s42, s43, s39
	s_mov_b32 s43, s38
.LBB0_10:                               ;   in Loop: Header=BB0_6 Depth=1
	s_load_dwordx2 s[46:47], s[34:35], 0x0
	s_load_dwordx2 s[48:49], s[4:5], 0x0
	s_mul_i32 s29, s40, s29
	s_mul_hi_u32 s39, s40, s28
	s_mul_i32 s45, s41, s28
	s_mul_i32 s41, s42, s41
	s_mul_hi_u32 s50, s42, s40
	s_mul_i32 s51, s43, s40
	s_add_i32 s29, s39, s29
	s_add_i32 s39, s50, s41
	s_mul_i32 s52, s42, s40
	s_add_i32 s29, s29, s45
	s_add_i32 s39, s39, s51
	s_sub_u32 s30, s30, s52
	s_subb_u32 s31, s31, s39
	s_mul_i32 s28, s40, s28
	s_waitcnt lgkmcnt(0)
	s_mul_i32 s39, s46, s31
	s_mul_hi_u32 s41, s46, s30
	s_mul_i32 s45, s47, s30
	s_add_i32 s39, s41, s39
	s_mul_i32 s46, s46, s30
	s_mul_i32 s31, s48, s31
	s_mul_hi_u32 s41, s48, s30
	s_add_i32 s39, s39, s45
	s_add_u32 s23, s46, s23
	s_addc_u32 s33, s39, s33
	s_add_i32 s31, s41, s31
	s_mul_i32 s39, s49, s30
	s_mul_i32 s30, s48, s30
	s_add_i32 s31, s31, s39
	s_add_u32 s19, s30, s19
	s_addc_u32 s44, s31, s44
	s_add_u32 s36, s36, 1
	s_addc_u32 s37, s37, 0
	s_add_u32 s4, s4, 8
	v_cmp_ge_u64_e64 s30, s[36:37], s[10:11]
	s_addc_u32 s5, s5, 0
	s_add_u32 s34, s34, 8
	s_addc_u32 s35, s35, 0
	s_add_u32 s12, s12, 8
	s_addc_u32 s13, s13, 0
	s_and_b32 vcc_lo, exec_lo, s30
	s_cbranch_vccnz .LBB0_12
; %bb.11:                               ;   in Loop: Header=BB0_6 Depth=1
	s_mov_b64 s[30:31], s[42:43]
	s_branch .LBB0_6
.LBB0_12:
	v_cmp_lt_u64_e64 s4, s[6:7], s[28:29]
	s_mov_b64 s[30:31], 0
	s_and_b32 vcc_lo, exec_lo, s4
	s_cbranch_vccnz .LBB0_14
; %bb.13:
	v_cvt_f32_u32_e32 v1, s28
	s_sub_i32 s5, 0, s28
	v_rcp_iflag_f32_e32 v1, v1
	v_mul_f32_e32 v1, 0x4f7ffffe, v1
	v_cvt_u32_f32_e32 v1, v1
	v_readfirstlane_b32 s4, v1
	s_mul_i32 s5, s5, s4
	s_mul_hi_u32 s5, s4, s5
	s_add_i32 s4, s4, s5
	s_mul_hi_u32 s4, s6, s4
	s_mul_i32 s5, s4, s28
	s_sub_i32 s5, s6, s5
	s_add_i32 s6, s4, 1
	s_sub_i32 s7, s5, s28
	s_cmp_ge_u32 s5, s28
	s_cselect_b32 s4, s6, s4
	s_cselect_b32 s5, s7, s5
	s_add_i32 s6, s4, 1
	s_cmp_ge_u32 s5, s28
	s_cselect_b32 s30, s6, s4
.LBB0_14:
	s_lshl_b64 s[10:11], s[10:11], 3
	v_mul_hi_u32 v18, 0x33333334, v0
	s_add_u32 s4, s14, s10
	s_addc_u32 s5, s15, s11
	s_mov_b32 s7, 0x31014000
	s_load_dword s12, s[4:5], 0x0
	s_mov_b32 s4, s0
	s_mov_b32 s5, s1
	s_mov_b32 s6, -2
	v_mul_u32_u24_e32 v1, 5, v18
	v_add_nc_u32_e32 v3, 49, v18
	v_add_nc_u32_e32 v4, 0x62, v18
	;; [unrolled: 1-line block ×4, first 2 shown]
	v_sub_nc_u32_e32 v8, v0, v1
	v_add_nc_u32_e32 v1, 0xf5, v18
	v_add_nc_u32_e32 v10, 0x126, v18
	v_mul_lo_u32 v3, s20, v3
	v_mul_lo_u32 v4, s20, v4
	;; [unrolled: 1-line block ×8, first 2 shown]
	s_waitcnt lgkmcnt(0)
	s_mul_i32 s0, s12, s30
	v_lshlrev_b32_e32 v19, 2, v8
	s_add_i32 s12, s0, s23
	s_add_u32 s0, s26, s10
	s_addc_u32 s1, s27, s11
	v_add_lshl_u32 v1, v11, v1, 2
	s_load_dword s0, s[0:1], 0x0
	v_add_co_u32 v5, s1, s21, v8
	v_add_co_ci_u32_e64 v6, null, s17, 0, s1
	v_add_lshl_u32 v3, v11, v3, 2
	v_add_lshl_u32 v4, v11, v4, 2
	v_add_lshl_u32 v2, v11, v2, 2
	v_cmp_gt_u64_e32 vcc_lo, s[24:25], v[5:6]
	v_add_lshl_u32 v6, v11, v7, 2
	v_add_lshl_u32 v7, v11, v9, 2
	v_add_lshl_u32 v9, v11, v10, 2
	v_mul_hi_u32 v10, 0x24924925, v18
	v_mul_u32_u24_e32 v11, 0x8c, v18
	v_mul_lo_u32 v8, s18, v8
	v_add3_u32 v11, 0, v11, v19
	v_mul_u32_u24_e32 v10, 7, v10
	s_waitcnt lgkmcnt(0)
	s_mul_i32 s0, s0, s30
	s_add_i32 s0, s0, s19
	s_add_u32 s10, s21, 5
	s_addc_u32 s11, s17, 0
	v_sub_nc_u32_e32 v20, v18, v10
	v_cmp_le_u64_e64 s1, s[10:11], s[24:25]
	s_lshl_b32 s10, s12, 2
	s_or_b32 vcc_lo, s1, vcc_lo
	s_add_i32 s1, 0, 0x1acc
	v_cndmask_b32_e32 v1, -1, v1, vcc_lo
	v_cndmask_b32_e32 v3, -1, v3, vcc_lo
	;; [unrolled: 1-line block ×7, first 2 shown]
	s_clause 0x6
	buffer_load_dword v1, v1, s[4:7], s10 offen
	buffer_load_dword v3, v3, s[4:7], s10 offen
	;; [unrolled: 1-line block ×7, first 2 shown]
	s_mov_b32 s4, s2
	s_mov_b32 s5, s3
	s_waitcnt vmcnt(5)
	v_alignbit_b32 v10, s0, v3, 16
	s_waitcnt vmcnt(4)
	v_pk_add_f16 v12, v1, v4 op_sel_hi:[0,1]
	s_waitcnt vmcnt(3)
	v_bfi_b32 v13, 0xffff, v3, v6
	v_bfi_b32 v15, 0xffff, v6, v4
	s_waitcnt vmcnt(1)
	v_bfi_b32 v14, 0xffff, v9, v7
	v_bfi_b32 v16, 0xffff, v7, v1
	v_pk_add_f16 v1, v4, v1 op_sel:[1,1] op_sel_hi:[0,0] neg_lo:[0,1] neg_hi:[0,1]
	v_pk_add_f16 v4, v7, v6 op_sel:[1,1] op_sel_hi:[0,0] neg_lo:[0,1] neg_hi:[0,1]
	;; [unrolled: 1-line block ×3, first 2 shown]
	v_pk_add_f16 v6, v9, v10 op_sel:[1,0]
	v_pk_add_f16 v7, v15, v16
	v_pk_add_f16 v9, v13, v14
	;; [unrolled: 1-line block ×3, first 2 shown]
	v_bfi_b32 v13, 0xffff, v4, v3
	v_bfi_b32 v14, 0xffff, v1, v4
	;; [unrolled: 1-line block ×5, first 2 shown]
	v_pack_b32_f16 v17, v9, v6
	v_pack_b32_f16 v6, v7, v6
	v_bfi_b32 v12, 0xffff, v12, v9
	v_pk_add_f16 v21, v9, v7 neg_lo:[0,1] neg_hi:[0,1]
	v_pk_add_f16 v13, v13, v14 neg_lo:[0,1] neg_hi:[0,1]
	v_pk_add_f16 v4, v15, v4 neg_lo:[0,1] neg_hi:[0,1]
	v_bfi_b32 v7, 0xffff, v7, v9
	v_pk_add_f16 v9, v16, v17
	v_pk_add_f16 v6, v6, v12 neg_lo:[0,1] neg_hi:[0,1]
	v_pk_add_f16 v1, v1, v3 neg_lo:[0,1] neg_hi:[0,1]
	v_pk_add_f16 v3, v10, v3
	v_pk_mul_f16 v10, 0x2b263a52, v21
	v_pk_mul_f16 v12, 0x3574b846, v13
	;; [unrolled: 1-line block ×3, first 2 shown]
	v_pk_add_f16 v7, v7, v9
	v_pk_mul_f16 v6, 0x3a522b26, v6
	v_pk_add_f16 v14, v16, v17 neg_lo:[0,1] neg_hi:[0,1]
	v_pk_fma_f16 v4, 0xb8463574, v4, v12
	v_bfi_b32 v9, 0xffff, v13, v12
	v_bfi_b32 v12, 0xffff, v12, v13
	s_waitcnt vmcnt(0)
	v_pk_add_f16 v2, v7, v2
	v_pk_fma_f16 v13, 0x2b263a52, v21, v6
	v_bfi_b32 v15, 0xffff, v10, v6
	v_bfi_b32 v6, 0xffff, v6, v10
	v_pk_fma_f16 v9, 0x3b00, v1, v9 op_sel_hi:[0,1,1] neg_lo:[0,1,1] neg_hi:[0,1,1]
	v_pk_fma_f16 v7, 0xbcab, v7, v2 op_sel_hi:[0,1,1]
	v_pk_fma_f16 v1, 0x3b00, v1, v12 op_sel_hi:[0,1,1] neg_lo:[0,0,1] neg_hi:[0,0,1]
	v_pk_fma_f16 v10, 0x39e0, v14, v15 op_sel_hi:[0,1,1] neg_lo:[0,1,1] neg_hi:[0,1,1]
	;; [unrolled: 1-line block ×3, first 2 shown]
	v_pk_fma_f16 v4, 0x370e, v3, v4 op_sel_hi:[0,1,1]
	v_pk_add_f16 v12, v13, v7
	v_pk_fma_f16 v9, 0x370e, v3, v9 op_sel_hi:[0,1,1]
	v_pk_add_f16 v10, v10, v7
	;; [unrolled: 2-line block ×3, first 2 shown]
	v_pk_add_f16 v6, v12, v4
	v_pk_add_f16 v4, v12, v4 neg_lo:[0,1] neg_hi:[0,1]
	v_pk_add_f16 v7, v10, v9
	v_pk_add_f16 v9, v10, v9 neg_lo:[0,1] neg_hi:[0,1]
	v_pk_add_f16 v10, v3, v1 neg_lo:[0,1] neg_hi:[0,1]
	v_pk_add_f16 v1, v3, v1
	v_mul_u32_u24_e32 v3, 6, v20
	v_bfi_b32 v12, 0xffff, v6, v4
	v_bfi_b32 v4, 0xffff, v4, v6
	;; [unrolled: 1-line block ×4, first 2 shown]
	v_lshlrev_b32_e32 v6, 2, v3
	v_bfi_b32 v1, 0xffff, v1, v10
	v_bfi_b32 v7, 0xffff, v9, v7
	ds_write2_b32 v11, v2, v12 offset1:5
	ds_write2_b32 v11, v13, v14 offset0:10 offset1:15
	ds_write2_b32 v11, v1, v7 offset0:20 offset1:25
	ds_write_b32 v11, v4 offset:120
	s_waitcnt lgkmcnt(0)
	s_barrier
	buffer_gl0_inv
	s_clause 0x1
	global_load_dwordx4 v[1:4], v6, s[8:9]
	global_load_dwordx2 v[6:7], v6, s[8:9] offset:16
	v_mad_i32_i24 v9, 0xffffff88, v18, v11
	v_mul_hi_u32 v12, 0x539782a, v18
	v_mul_hi_u32 v21, 0x7507508, v0
	;; [unrolled: 1-line block ×3, first 2 shown]
	s_lshl_b32 s0, s0, 2
	v_add_nc_u32_e32 v10, 0x780, v9
	v_add_nc_u32_e32 v11, 0xf40, v9
	v_mul_u32_u24_e32 v22, 49, v12
	ds_read2_b32 v[12:13], v9 offset1:245
	ds_read2_b32 v[14:15], v10 offset0:10 offset1:255
	ds_read2_b32 v[16:17], v11 offset0:4 offset1:249
	ds_read_b32 v23, v9 offset:5880
	v_mad_u32_u24 v20, v21, 49, v20
	s_waitcnt vmcnt(0) lgkmcnt(0)
	s_barrier
	v_sub_nc_u32_e32 v18, v18, v22
	buffer_gl0_inv
	v_mul_i32_i24_e32 v20, 20, v20
	v_mul_u32_u24_e32 v21, 6, v18
	v_mad_u32_u24 v0, 0x157, v0, v18
	v_add3_u32 v19, 0, v20, v19
	v_lshlrev_b32_e32 v21, 2, v21
	v_lshrrev_b32_e32 v20, 16, v13
	v_lshrrev_b32_e32 v22, 16, v14
	;; [unrolled: 1-line block ×6, first 2 shown]
	v_mul_f16_sdwa v28, v1, v20 dst_sel:DWORD dst_unused:UNUSED_PAD src0_sel:WORD_1 src1_sel:DWORD
	v_mul_f16_sdwa v29, v1, v13 dst_sel:DWORD dst_unused:UNUSED_PAD src0_sel:WORD_1 src1_sel:DWORD
	;; [unrolled: 1-line block ×12, first 2 shown]
	v_fma_f16 v13, v1, v13, -v28
	v_fmac_f16_e32 v29, v1, v20
	v_fma_f16 v1, v2, v14, -v30
	v_fmac_f16_e32 v31, v2, v22
	;; [unrolled: 2-line block ×3, first 2 shown]
	v_fma_f16 v3, v4, v16, -v34
	v_fma_f16 v14, v7, v23, -v38
	v_fmac_f16_e32 v39, v7, v27
	v_fmac_f16_e32 v35, v4, v25
	v_fma_f16 v4, v6, v17, -v36
	v_fmac_f16_e32 v37, v6, v26
	v_add_f16_e32 v6, v13, v14
	v_add_f16_e32 v7, v29, v39
	v_sub_f16_e32 v13, v13, v14
	v_add_f16_e32 v15, v1, v4
	v_add_f16_e32 v16, v31, v37
	v_sub_f16_e32 v14, v29, v39
	v_sub_f16_e32 v1, v1, v4
	;; [unrolled: 1-line block ×3, first 2 shown]
	v_add_f16_e32 v17, v2, v3
	v_add_f16_e32 v20, v33, v35
	v_sub_f16_e32 v2, v3, v2
	v_sub_f16_e32 v3, v35, v33
	v_add_f16_e32 v22, v15, v6
	v_add_f16_e32 v23, v16, v7
	v_sub_f16_e32 v24, v15, v6
	v_sub_f16_e32 v25, v16, v7
	;; [unrolled: 1-line block ×6, first 2 shown]
	v_add_f16_e32 v26, v2, v1
	v_add_f16_e32 v27, v3, v4
	v_sub_f16_e32 v28, v2, v1
	v_sub_f16_e32 v29, v3, v4
	;; [unrolled: 1-line block ×4, first 2 shown]
	v_add_f16_e32 v17, v17, v22
	v_add_f16_e32 v20, v20, v23
	v_sub_f16_e32 v2, v13, v2
	v_sub_f16_e32 v3, v14, v3
	v_add_f16_e32 v13, v26, v13
	v_add_f16_e32 v14, v27, v14
	v_mul_f16_e32 v6, 0x3a52, v6
	v_mul_f16_e32 v7, 0x3a52, v7
	;; [unrolled: 1-line block ×8, first 2 shown]
	v_add_f16_e32 v30, v17, v12
	v_add_f16_sdwa v12, v20, v12 dst_sel:DWORD dst_unused:UNUSED_PAD src0_sel:DWORD src1_sel:WORD_1
	v_fmamk_f16 v15, v15, 0x2b26, v6
	v_fmamk_f16 v16, v16, 0x2b26, v7
	v_fma_f16 v22, v24, 0x39e0, -v22
	v_fma_f16 v23, v25, 0x39e0, -v23
	;; [unrolled: 1-line block ×4, first 2 shown]
	v_fmamk_f16 v24, v2, 0x3574, v26
	v_fmamk_f16 v25, v3, 0x3574, v27
	v_fma_f16 v1, v1, 0x3b00, -v26
	v_fma_f16 v4, v4, 0x3b00, -v27
	;; [unrolled: 1-line block ×4, first 2 shown]
	v_fmamk_f16 v17, v17, 0xbcab, v30
	v_fmamk_f16 v20, v20, 0xbcab, v12
	v_fmac_f16_e32 v24, 0x370e, v13
	v_fmac_f16_e32 v25, 0x370e, v14
	;; [unrolled: 1-line block ×6, first 2 shown]
	v_add_f16_e32 v13, v15, v17
	v_add_f16_e32 v14, v16, v20
	;; [unrolled: 1-line block ×7, first 2 shown]
	v_sub_f16_e32 v20, v14, v24
	v_add_f16_e32 v22, v3, v6
	v_sub_f16_e32 v23, v7, v2
	v_sub_f16_e32 v26, v15, v4
	v_add_f16_e32 v27, v1, v16
	v_add_f16_e32 v4, v4, v15
	v_sub_f16_e32 v1, v16, v1
	v_sub_f16_e32 v3, v6, v3
	v_add_f16_e32 v2, v2, v7
	v_sub_f16_e32 v6, v13, v25
	v_add_f16_e32 v7, v24, v14
	v_pack_b32_f16 v12, v30, v12
	v_pack_b32_f16 v13, v17, v20
	;; [unrolled: 1-line block ×7, first 2 shown]
	ds_write2_b32 v19, v12, v13 offset1:35
	ds_write2_b32 v19, v14, v15 offset0:70 offset1:105
	ds_write2_b32 v19, v1, v2 offset0:140 offset1:175
	ds_write_b32 v19, v3 offset:840
	s_waitcnt lgkmcnt(0)
	s_barrier
	buffer_gl0_inv
	s_clause 0x1
	global_load_dwordx4 v[1:4], v21, s[8:9] offset:168
	global_load_dwordx2 v[6:7], v21, s[8:9] offset:184
	v_mul_lo_u32 v12, v5, 49
	v_mul_lo_u32 v5, v18, v5
	;; [unrolled: 1-line block ×3, first 2 shown]
	v_add_nc_u32_e32 v14, 49, v0
	v_add_nc_u32_e32 v15, 0x62, v0
	;; [unrolled: 1-line block ×6, first 2 shown]
	v_and_b32_e32 v19, 63, v5
	v_lshrrev_b32_e32 v20, 4, v5
	v_lshrrev_b32_e32 v21, 10, v5
	v_add_nc_u32_e32 v5, v5, v12
	v_mul_lo_u32 v14, s16, v14
	v_mul_lo_u32 v15, s16, v15
	;; [unrolled: 1-line block ×4, first 2 shown]
	v_and_b32_e32 v22, 63, v5
	v_lshrrev_b32_e32 v23, 4, v5
	v_lshrrev_b32_e32 v24, 10, v5
	v_add_nc_u32_e32 v5, v5, v12
	v_mul_lo_u32 v18, s16, v18
	v_mul_lo_u32 v0, s16, v0
	v_add_lshl_u32 v13, v8, v13, 2
	v_add_lshl_u32 v14, v8, v14, 2
	v_and_b32_e32 v25, 63, v5
	v_lshrrev_b32_e32 v26, 4, v5
	v_lshrrev_b32_e32 v27, 10, v5
	v_add_nc_u32_e32 v5, v5, v12
	v_add_lshl_u32 v15, v8, v15, 2
	v_add_lshl_u32 v16, v8, v16, 2
	;; [unrolled: 1-line block ×5, first 2 shown]
	v_lshl_add_u32 v8, v25, 2, 0
	v_and_b32_e32 v25, 0xfc, v26
	v_and_b32_e32 v26, 63, v5
	v_lshrrev_b32_e32 v28, 4, v5
	v_lshrrev_b32_e32 v29, 10, v5
	v_add_nc_u32_e32 v5, v5, v12
	v_and_b32_e32 v20, 0xfc, v20
	v_and_b32_e32 v21, 0xfc, v21
	;; [unrolled: 1-line block ×5, first 2 shown]
	v_lshrrev_b32_e32 v31, 4, v5
	v_lshrrev_b32_e32 v32, 10, v5
	v_add_nc_u32_e32 v5, v5, v12
	v_and_b32_e32 v27, 0xfc, v27
	v_and_b32_e32 v28, 0xfc, v28
	;; [unrolled: 1-line block ×5, first 2 shown]
	v_lshrrev_b32_e32 v34, 4, v5
	v_lshrrev_b32_e32 v35, 10, v5
	v_add_nc_u32_e32 v5, v5, v12
	v_and_b32_e32 v32, 0xfc, v32
	v_lshl_add_u32 v19, v19, 2, 0
	v_and_b32_e32 v12, 0xfc, v34
	v_and_b32_e32 v34, 0xfc, v35
	v_and_b32_e32 v35, 63, v5
	v_lshrrev_b32_e32 v36, 4, v5
	v_lshrrev_b32_e32 v5, 10, v5
	v_add_nc_u32_e32 v40, s1, v12
	v_lshl_add_u32 v22, v22, 2, 0
	v_lshl_add_u32 v26, v26, 2, 0
	v_and_b32_e32 v12, 0xfc, v36
	v_and_b32_e32 v5, 0xfc, v5
	v_add_nc_u32_e32 v20, s1, v20
	v_add_nc_u32_e32 v21, s1, v21
	;; [unrolled: 1-line block ×8, first 2 shown]
	v_lshl_add_u32 v30, v30, 2, 0
	v_add_nc_u32_e32 v31, s1, v31
	v_add_nc_u32_e32 v32, s1, v32
	v_lshl_add_u32 v33, v33, 2, 0
	v_add_nc_u32_e32 v34, s1, v34
	v_lshl_add_u32 v35, v35, 2, 0
	v_add_nc_u32_e32 v36, s1, v12
	v_add_nc_u32_e32 v5, s1, v5
	v_cndmask_b32_e32 v37, -1, v13, vcc_lo
	v_cndmask_b32_e32 v38, -1, v14, vcc_lo
	;; [unrolled: 1-line block ×3, first 2 shown]
	ds_read2_b32 v[12:13], v9 offset1:245
	ds_read2_b32 v[14:15], v10 offset0:10 offset1:255
	ds_read2_b32 v[10:11], v11 offset0:4 offset1:249
	ds_read_b32 v9, v9 offset:5880
	ds_read_b32 v19, v19 offset:6860
	;; [unrolled: 1-line block ×22, first 2 shown]
	s_waitcnt lgkmcnt(20)
	v_lshrrev_b32_e32 v47, 16, v19
	s_waitcnt lgkmcnt(19)
	v_mul_f16_sdwa v48, v19, v20 dst_sel:DWORD dst_unused:UNUSED_PAD src0_sel:DWORD src1_sel:WORD_1
	s_waitcnt lgkmcnt(17)
	v_lshrrev_b32_e32 v49, 16, v22
	s_waitcnt lgkmcnt(16)
	v_mul_f16_sdwa v50, v22, v23 dst_sel:DWORD dst_unused:UNUSED_PAD src0_sel:DWORD src1_sel:WORD_1
	v_lshrrev_b32_e32 v41, 16, v13
	v_mul_f16_sdwa v57, v47, v20 dst_sel:DWORD dst_unused:UNUSED_PAD src0_sel:DWORD src1_sel:WORD_1
	s_waitcnt lgkmcnt(14)
	v_lshrrev_b32_e32 v51, 16, v8
	s_waitcnt lgkmcnt(13)
	v_mul_f16_sdwa v52, v8, v25 dst_sel:DWORD dst_unused:UNUSED_PAD src0_sel:DWORD src1_sel:WORD_1
	s_waitcnt lgkmcnt(11)
	v_lshrrev_b32_e32 v53, 16, v26
	s_waitcnt lgkmcnt(10)
	v_mul_f16_sdwa v54, v26, v28 dst_sel:DWORD dst_unused:UNUSED_PAD src0_sel:DWORD src1_sel:WORD_1
	v_fmac_f16_e32 v48, v47, v20
	s_waitcnt lgkmcnt(8)
	v_lshrrev_b32_e32 v55, 16, v30
	s_waitcnt lgkmcnt(7)
	v_mul_f16_sdwa v56, v30, v31 dst_sel:DWORD dst_unused:UNUSED_PAD src0_sel:DWORD src1_sel:WORD_1
	v_fma_f16 v19, v19, v20, -v57
	s_waitcnt lgkmcnt(5)
	v_lshrrev_b32_e32 v58, 16, v33
	s_waitcnt lgkmcnt(4)
	v_mul_f16_sdwa v59, v33, v40 dst_sel:DWORD dst_unused:UNUSED_PAD src0_sel:DWORD src1_sel:WORD_1
	v_mul_f16_sdwa v57, v49, v23 dst_sel:DWORD dst_unused:UNUSED_PAD src0_sel:DWORD src1_sel:WORD_1
	s_waitcnt lgkmcnt(2)
	v_lshrrev_b32_e32 v47, 16, v35
	s_waitcnt lgkmcnt(1)
	v_mul_f16_sdwa v20, v35, v36 dst_sel:DWORD dst_unused:UNUSED_PAD src0_sel:DWORD src1_sel:WORD_1
	v_fmac_f16_e32 v50, v49, v23
	v_mul_f16_sdwa v49, v51, v25 dst_sel:DWORD dst_unused:UNUSED_PAD src0_sel:DWORD src1_sel:WORD_1
	v_fmac_f16_e32 v52, v51, v25
	;; [unrolled: 2-line block ×6, first 2 shown]
	v_mul_f16_sdwa v47, v48, v21 dst_sel:DWORD dst_unused:UNUSED_PAD src0_sel:DWORD src1_sel:WORD_1
	v_fma_f16 v22, v22, v23, -v57
	v_mul_f16_sdwa v23, v50, v24 dst_sel:DWORD dst_unused:UNUSED_PAD src0_sel:DWORD src1_sel:WORD_1
	v_fma_f16 v8, v8, v25, -v49
	;; [unrolled: 2-line block ×6, first 2 shown]
	s_waitcnt lgkmcnt(0)
	v_mul_f16_sdwa v36, v20, v5 dst_sel:DWORD dst_unused:UNUSED_PAD src0_sel:DWORD src1_sel:WORD_1
	v_lshrrev_b32_e32 v42, 16, v14
	v_lshrrev_b32_e32 v43, 16, v15
	;; [unrolled: 1-line block ×5, first 2 shown]
	v_fma_f16 v47, v21, v19, -v47
	v_mul_f16_sdwa v19, v19, v21 dst_sel:DWORD dst_unused:UNUSED_PAD src0_sel:DWORD src1_sel:WORD_1
	v_fma_f16 v23, v24, v22, -v23
	v_mul_f16_sdwa v22, v22, v24 dst_sel:DWORD dst_unused:UNUSED_PAD src0_sel:DWORD src1_sel:WORD_1
	;; [unrolled: 2-line block ×7, first 2 shown]
	v_fmac_f16_e32 v19, v21, v48
	v_fmac_f16_e32 v22, v24, v50
	;; [unrolled: 1-line block ×7, first 2 shown]
	v_cndmask_b32_e32 v16, -1, v16, vcc_lo
	v_cndmask_b32_e32 v17, -1, v17, vcc_lo
	;; [unrolled: 1-line block ×4, first 2 shown]
	s_waitcnt vmcnt(1)
	v_mul_f16_sdwa v5, v1, v41 dst_sel:DWORD dst_unused:UNUSED_PAD src0_sel:WORD_1 src1_sel:DWORD
	v_mul_f16_sdwa v20, v1, v13 dst_sel:DWORD dst_unused:UNUSED_PAD src0_sel:WORD_1 src1_sel:DWORD
	;; [unrolled: 1-line block ×8, first 2 shown]
	s_waitcnt vmcnt(0)
	v_mul_f16_sdwa v48, v6, v45 dst_sel:DWORD dst_unused:UNUSED_PAD src0_sel:WORD_1 src1_sel:DWORD
	v_mul_f16_sdwa v50, v7, v46 dst_sel:DWORD dst_unused:UNUSED_PAD src0_sel:WORD_1 src1_sel:DWORD
	;; [unrolled: 1-line block ×4, first 2 shown]
	v_fma_f16 v5, v1, v13, -v5
	v_fmac_f16_e32 v20, v1, v41
	v_fma_f16 v1, v2, v14, -v21
	v_fmac_f16_e32 v24, v2, v42
	;; [unrolled: 2-line block ×3, first 2 shown]
	v_fma_f16 v3, v4, v10, -v32
	v_fma_f16 v9, v7, v9, -v50
	v_fmac_f16_e32 v34, v4, v44
	v_fma_f16 v4, v6, v11, -v48
	v_fmac_f16_e32 v51, v7, v46
	v_fmac_f16_e32 v49, v6, v45
	v_add_f16_e32 v6, v5, v9
	v_sub_f16_e32 v5, v5, v9
	v_add_f16_e32 v10, v1, v4
	v_add_f16_e32 v7, v20, v51
	;; [unrolled: 1-line block ×3, first 2 shown]
	v_sub_f16_e32 v9, v20, v51
	v_sub_f16_e32 v1, v1, v4
	;; [unrolled: 1-line block ×3, first 2 shown]
	v_add_f16_e32 v13, v2, v3
	v_add_f16_e32 v14, v29, v34
	v_sub_f16_e32 v2, v3, v2
	v_sub_f16_e32 v3, v34, v29
	v_add_f16_e32 v15, v10, v6
	v_add_f16_e32 v20, v11, v7
	v_sub_f16_e32 v21, v10, v6
	v_sub_f16_e32 v24, v11, v7
	;; [unrolled: 1-line block ×6, first 2 shown]
	v_add_f16_e32 v29, v3, v4
	v_sub_f16_e32 v34, v3, v4
	v_sub_f16_e32 v4, v4, v9
	v_add_f16_e32 v13, v13, v15
	v_add_f16_e32 v27, v2, v1
	v_sub_f16_e32 v32, v2, v1
	v_sub_f16_e32 v1, v1, v5
	v_add_f16_e32 v14, v14, v20
	v_sub_f16_e32 v3, v9, v3
	v_add_f16_e32 v9, v29, v9
	v_mul_f16_e32 v6, 0x3a52, v6
	v_mul_f16_e32 v7, 0x3a52, v7
	;; [unrolled: 1-line block ×5, first 2 shown]
	v_add_f16_e32 v41, v13, v12
	v_sub_f16_e32 v2, v5, v2
	v_add_f16_e32 v5, v27, v5
	v_mul_f16_e32 v15, 0x2b26, v10
	v_mul_f16_e32 v27, 0xb846, v32
	;; [unrolled: 1-line block ×3, first 2 shown]
	v_add_f16_sdwa v12, v14, v12 dst_sel:DWORD dst_unused:UNUSED_PAD src0_sel:DWORD src1_sel:WORD_1
	v_fmamk_f16 v10, v10, 0x2b26, v6
	v_fmamk_f16 v11, v11, 0x2b26, v7
	v_fma_f16 v20, v24, 0x39e0, -v20
	v_fma_f16 v7, v24, 0xb9e0, -v7
	v_fmamk_f16 v24, v3, 0x3574, v29
	v_fma_f16 v4, v4, 0x3b00, -v29
	v_fma_f16 v3, v3, 0xb574, -v34
	;; [unrolled: 3-line block ×3, first 2 shown]
	v_fmamk_f16 v21, v2, 0x3574, v27
	v_fma_f16 v2, v2, 0xb574, -v32
	v_fmamk_f16 v14, v14, 0xbcab, v12
	v_fma_f16 v1, v1, 0x3b00, -v27
	v_fmac_f16_e32 v24, 0x370e, v9
	v_fmac_f16_e32 v4, 0x370e, v9
	;; [unrolled: 1-line block ×3, first 2 shown]
	v_mul_f16_e32 v9, v41, v19
	v_add_f16_e32 v10, v10, v13
	v_fmac_f16_e32 v2, 0x370e, v5
	v_add_f16_e32 v6, v6, v13
	v_add_f16_e32 v7, v7, v14
	;; [unrolled: 1-line block ×3, first 2 shown]
	v_fmac_f16_e32 v21, 0x370e, v5
	v_fmac_f16_e32 v1, 0x370e, v5
	v_mul_f16_e32 v5, v12, v19
	v_add_f16_e32 v11, v11, v14
	v_add_f16_e32 v19, v20, v14
	v_fmac_f16_e32 v9, v12, v47
	v_add_f16_e32 v12, v24, v10
	v_add_f16_e32 v14, v3, v6
	v_sub_f16_e32 v20, v7, v2
	v_sub_f16_e32 v27, v15, v4
	v_add_f16_e32 v4, v4, v15
	v_sub_f16_e32 v13, v11, v21
	v_add_f16_e32 v29, v1, v19
	v_sub_f16_e32 v1, v19, v1
	v_sub_f16_e32 v3, v6, v3
	v_add_f16_e32 v2, v2, v7
	v_sub_f16_e32 v6, v10, v24
	v_add_f16_e32 v7, v21, v11
	v_mul_f16_e32 v11, v12, v22
	v_fma_f16 v5, v41, v47, -v5
	v_lshlrev_b32_e32 v9, 16, v9
	v_mul_f16_e32 v15, v20, v8
	v_mul_f16_e32 v8, v14, v8
	;; [unrolled: 1-line block ×10, first 2 shown]
	v_fmac_f16_e32 v11, v13, v23
	v_or_b32_sdwa v5, v9, v5 dst_sel:DWORD dst_unused:UNUSED_PAD src0_sel:DWORD src1_sel:WORD_0
	v_fmac_f16_e32 v8, v20, v25
	v_mul_f16_e32 v32, v7, v35
	v_fmac_f16_e32 v21, v29, v28
	v_fmac_f16_e32 v24, v1, v31
	;; [unrolled: 1-line block ×3, first 2 shown]
	v_fma_f16 v9, v12, v23, -v10
	v_fma_f16 v1, v3, v40, -v26
	v_fmac_f16_e32 v33, v7, v36
	v_lshlrev_b32_e32 v3, 16, v11
	v_fma_f16 v10, v14, v25, -v15
	buffer_store_dword v5, v37, s[4:7], s0 offen
	v_lshlrev_b32_e32 v5, 16, v8
	v_fma_f16 v12, v27, v28, -v19
	v_fma_f16 v2, v6, v36, -v32
	v_lshlrev_b32_e32 v6, 16, v21
	v_fma_f16 v4, v4, v31, -v22
	v_lshlrev_b32_e32 v7, 16, v24
	v_lshlrev_b32_e32 v8, 16, v30
	;; [unrolled: 1-line block ×3, first 2 shown]
	v_or_b32_sdwa v3, v3, v9 dst_sel:DWORD dst_unused:UNUSED_PAD src0_sel:DWORD src1_sel:WORD_0
	v_or_b32_sdwa v5, v5, v10 dst_sel:DWORD dst_unused:UNUSED_PAD src0_sel:DWORD src1_sel:WORD_0
	;; [unrolled: 1-line block ×6, first 2 shown]
	buffer_store_dword v3, v38, s[4:7], s0 offen
	buffer_store_dword v5, v39, s[4:7], s0 offen
	;; [unrolled: 1-line block ×6, first 2 shown]
	s_endpgm
	.section	.rodata,"a",@progbits
	.p2align	6, 0x0
	.amdhsa_kernel fft_rtc_fwd_len343_factors_7_7_7_wgs_245_tpt_49_half_op_CI_CI_sbcc_twdbase6_3step_dirReg_intrinsicReadWrite
		.amdhsa_group_segment_fixed_size 0
		.amdhsa_private_segment_fixed_size 0
		.amdhsa_kernarg_size 112
		.amdhsa_user_sgpr_count 6
		.amdhsa_user_sgpr_private_segment_buffer 1
		.amdhsa_user_sgpr_dispatch_ptr 0
		.amdhsa_user_sgpr_queue_ptr 0
		.amdhsa_user_sgpr_kernarg_segment_ptr 1
		.amdhsa_user_sgpr_dispatch_id 0
		.amdhsa_user_sgpr_flat_scratch_init 0
		.amdhsa_user_sgpr_private_segment_size 0
		.amdhsa_wavefront_size32 1
		.amdhsa_uses_dynamic_stack 0
		.amdhsa_system_sgpr_private_segment_wavefront_offset 0
		.amdhsa_system_sgpr_workgroup_id_x 1
		.amdhsa_system_sgpr_workgroup_id_y 0
		.amdhsa_system_sgpr_workgroup_id_z 0
		.amdhsa_system_sgpr_workgroup_info 0
		.amdhsa_system_vgpr_workitem_id 0
		.amdhsa_next_free_vgpr 60
		.amdhsa_next_free_sgpr 53
		.amdhsa_reserve_vcc 1
		.amdhsa_reserve_flat_scratch 0
		.amdhsa_float_round_mode_32 0
		.amdhsa_float_round_mode_16_64 0
		.amdhsa_float_denorm_mode_32 3
		.amdhsa_float_denorm_mode_16_64 3
		.amdhsa_dx10_clamp 1
		.amdhsa_ieee_mode 1
		.amdhsa_fp16_overflow 0
		.amdhsa_workgroup_processor_mode 1
		.amdhsa_memory_ordered 1
		.amdhsa_forward_progress 0
		.amdhsa_shared_vgpr_count 0
		.amdhsa_exception_fp_ieee_invalid_op 0
		.amdhsa_exception_fp_denorm_src 0
		.amdhsa_exception_fp_ieee_div_zero 0
		.amdhsa_exception_fp_ieee_overflow 0
		.amdhsa_exception_fp_ieee_underflow 0
		.amdhsa_exception_fp_ieee_inexact 0
		.amdhsa_exception_int_div_zero 0
	.end_amdhsa_kernel
	.text
.Lfunc_end0:
	.size	fft_rtc_fwd_len343_factors_7_7_7_wgs_245_tpt_49_half_op_CI_CI_sbcc_twdbase6_3step_dirReg_intrinsicReadWrite, .Lfunc_end0-fft_rtc_fwd_len343_factors_7_7_7_wgs_245_tpt_49_half_op_CI_CI_sbcc_twdbase6_3step_dirReg_intrinsicReadWrite
                                        ; -- End function
	.section	.AMDGPU.csdata,"",@progbits
; Kernel info:
; codeLenInByte = 5948
; NumSgprs: 55
; NumVgprs: 60
; ScratchSize: 0
; MemoryBound: 0
; FloatMode: 240
; IeeeMode: 1
; LDSByteSize: 0 bytes/workgroup (compile time only)
; SGPRBlocks: 6
; VGPRBlocks: 7
; NumSGPRsForWavesPerEU: 55
; NumVGPRsForWavesPerEU: 60
; Occupancy: 16
; WaveLimiterHint : 0
; COMPUTE_PGM_RSRC2:SCRATCH_EN: 0
; COMPUTE_PGM_RSRC2:USER_SGPR: 6
; COMPUTE_PGM_RSRC2:TRAP_HANDLER: 0
; COMPUTE_PGM_RSRC2:TGID_X_EN: 1
; COMPUTE_PGM_RSRC2:TGID_Y_EN: 0
; COMPUTE_PGM_RSRC2:TGID_Z_EN: 0
; COMPUTE_PGM_RSRC2:TIDIG_COMP_CNT: 0
	.text
	.p2alignl 6, 3214868480
	.fill 48, 4, 3214868480
	.type	__hip_cuid_9e0eca224a832f36,@object ; @__hip_cuid_9e0eca224a832f36
	.section	.bss,"aw",@nobits
	.globl	__hip_cuid_9e0eca224a832f36
__hip_cuid_9e0eca224a832f36:
	.byte	0                               ; 0x0
	.size	__hip_cuid_9e0eca224a832f36, 1

	.ident	"AMD clang version 19.0.0git (https://github.com/RadeonOpenCompute/llvm-project roc-6.4.0 25133 c7fe45cf4b819c5991fe208aaa96edf142730f1d)"
	.section	".note.GNU-stack","",@progbits
	.addrsig
	.addrsig_sym __hip_cuid_9e0eca224a832f36
	.amdgpu_metadata
---
amdhsa.kernels:
  - .args:
      - .actual_access:  read_only
        .address_space:  global
        .offset:         0
        .size:           8
        .value_kind:     global_buffer
      - .address_space:  global
        .offset:         8
        .size:           8
        .value_kind:     global_buffer
      - .offset:         16
        .size:           8
        .value_kind:     by_value
      - .actual_access:  read_only
        .address_space:  global
        .offset:         24
        .size:           8
        .value_kind:     global_buffer
      - .actual_access:  read_only
        .address_space:  global
        .offset:         32
        .size:           8
        .value_kind:     global_buffer
      - .actual_access:  read_only
        .address_space:  global
        .offset:         40
        .size:           8
        .value_kind:     global_buffer
      - .offset:         48
        .size:           8
        .value_kind:     by_value
      - .actual_access:  read_only
        .address_space:  global
        .offset:         56
        .size:           8
        .value_kind:     global_buffer
      - .actual_access:  read_only
        .address_space:  global
        .offset:         64
        .size:           8
        .value_kind:     global_buffer
      - .offset:         72
        .size:           4
        .value_kind:     by_value
      - .actual_access:  read_only
        .address_space:  global
        .offset:         80
        .size:           8
        .value_kind:     global_buffer
      - .actual_access:  read_only
        .address_space:  global
        .offset:         88
        .size:           8
        .value_kind:     global_buffer
      - .address_space:  global
        .offset:         96
        .size:           8
        .value_kind:     global_buffer
      - .address_space:  global
        .offset:         104
        .size:           8
        .value_kind:     global_buffer
    .group_segment_fixed_size: 0
    .kernarg_segment_align: 8
    .kernarg_segment_size: 112
    .language:       OpenCL C
    .language_version:
      - 2
      - 0
    .max_flat_workgroup_size: 245
    .name:           fft_rtc_fwd_len343_factors_7_7_7_wgs_245_tpt_49_half_op_CI_CI_sbcc_twdbase6_3step_dirReg_intrinsicReadWrite
    .private_segment_fixed_size: 0
    .sgpr_count:     55
    .sgpr_spill_count: 0
    .symbol:         fft_rtc_fwd_len343_factors_7_7_7_wgs_245_tpt_49_half_op_CI_CI_sbcc_twdbase6_3step_dirReg_intrinsicReadWrite.kd
    .uniform_work_group_size: 1
    .uses_dynamic_stack: false
    .vgpr_count:     60
    .vgpr_spill_count: 0
    .wavefront_size: 32
    .workgroup_processor_mode: 1
amdhsa.target:   amdgcn-amd-amdhsa--gfx1030
amdhsa.version:
  - 1
  - 2
...

	.end_amdgpu_metadata
